;; amdgpu-corpus repo=ROCm/rocFFT kind=compiled arch=gfx906 opt=O3
	.text
	.amdgcn_target "amdgcn-amd-amdhsa--gfx906"
	.amdhsa_code_object_version 6
	.protected	fft_rtc_back_len245_factors_7_5_7_wgs_245_tpt_35_dp_ip_CI_sbrr_dirReg ; -- Begin function fft_rtc_back_len245_factors_7_5_7_wgs_245_tpt_35_dp_ip_CI_sbrr_dirReg
	.globl	fft_rtc_back_len245_factors_7_5_7_wgs_245_tpt_35_dp_ip_CI_sbrr_dirReg
	.p2align	8
	.type	fft_rtc_back_len245_factors_7_5_7_wgs_245_tpt_35_dp_ip_CI_sbrr_dirReg,@function
fft_rtc_back_len245_factors_7_5_7_wgs_245_tpt_35_dp_ip_CI_sbrr_dirReg: ; @fft_rtc_back_len245_factors_7_5_7_wgs_245_tpt_35_dp_ip_CI_sbrr_dirReg
; %bb.0:
	s_load_dwordx2 s[14:15], s[4:5], 0x18
	s_load_dwordx4 s[8:11], s[4:5], 0x0
	s_load_dwordx2 s[12:13], s[4:5], 0x50
	v_mul_u32_u24_e32 v1, 0x751, v0
	v_lshrrev_b32_e32 v1, 16, v1
	v_mad_u64_u32 v[28:29], s[0:1], s6, 7, v[1:2]
	s_waitcnt lgkmcnt(0)
	s_load_dwordx2 s[2:3], s[14:15], 0x0
	v_mov_b32_e32 v3, 0
	v_cmp_lt_u64_e64 s[0:1], s[10:11], 2
	v_mov_b32_e32 v29, v3
	v_mov_b32_e32 v1, 0
	;; [unrolled: 1-line block ×3, first 2 shown]
	s_and_b64 vcc, exec, s[0:1]
	v_mov_b32_e32 v2, 0
	v_mov_b32_e32 v8, v29
	s_cbranch_vccnz .LBB0_8
; %bb.1:
	s_load_dwordx2 s[0:1], s[4:5], 0x10
	s_add_u32 s6, s14, 8
	s_addc_u32 s7, s15, 0
	v_mov_b32_e32 v1, 0
	v_mov_b32_e32 v5, v28
	s_waitcnt lgkmcnt(0)
	s_add_u32 s18, s0, 8
	s_mov_b64 s[16:17], 1
	v_mov_b32_e32 v2, 0
	s_addc_u32 s19, s1, 0
	v_mov_b32_e32 v6, v29
.LBB0_2:                                ; =>This Inner Loop Header: Depth=1
	s_load_dwordx2 s[20:21], s[18:19], 0x0
                                        ; implicit-def: $vgpr7_vgpr8
	s_waitcnt lgkmcnt(0)
	v_or_b32_e32 v4, s21, v6
	v_cmp_ne_u64_e32 vcc, 0, v[3:4]
	s_and_saveexec_b64 s[0:1], vcc
	s_xor_b64 s[22:23], exec, s[0:1]
	s_cbranch_execz .LBB0_4
; %bb.3:                                ;   in Loop: Header=BB0_2 Depth=1
	v_cvt_f32_u32_e32 v4, s20
	v_cvt_f32_u32_e32 v7, s21
	s_sub_u32 s0, 0, s20
	s_subb_u32 s1, 0, s21
	v_mac_f32_e32 v4, 0x4f800000, v7
	v_rcp_f32_e32 v4, v4
	v_mul_f32_e32 v4, 0x5f7ffffc, v4
	v_mul_f32_e32 v7, 0x2f800000, v4
	v_trunc_f32_e32 v7, v7
	v_mac_f32_e32 v4, 0xcf800000, v7
	v_cvt_u32_f32_e32 v7, v7
	v_cvt_u32_f32_e32 v4, v4
	v_mul_lo_u32 v8, s0, v7
	v_mul_hi_u32 v9, s0, v4
	v_mul_lo_u32 v11, s1, v4
	v_mul_lo_u32 v10, s0, v4
	v_add_u32_e32 v8, v9, v8
	v_add_u32_e32 v8, v8, v11
	v_mul_hi_u32 v9, v4, v10
	v_mul_lo_u32 v11, v4, v8
	v_mul_hi_u32 v13, v4, v8
	v_mul_hi_u32 v12, v7, v10
	v_mul_lo_u32 v10, v7, v10
	v_mul_hi_u32 v14, v7, v8
	v_add_co_u32_e32 v9, vcc, v9, v11
	v_addc_co_u32_e32 v11, vcc, 0, v13, vcc
	v_mul_lo_u32 v8, v7, v8
	v_add_co_u32_e32 v9, vcc, v9, v10
	v_addc_co_u32_e32 v9, vcc, v11, v12, vcc
	v_addc_co_u32_e32 v10, vcc, 0, v14, vcc
	v_add_co_u32_e32 v8, vcc, v9, v8
	v_addc_co_u32_e32 v9, vcc, 0, v10, vcc
	v_add_co_u32_e32 v4, vcc, v4, v8
	v_addc_co_u32_e32 v7, vcc, v7, v9, vcc
	v_mul_lo_u32 v8, s0, v7
	v_mul_hi_u32 v9, s0, v4
	v_mul_lo_u32 v10, s1, v4
	v_mul_lo_u32 v11, s0, v4
	v_add_u32_e32 v8, v9, v8
	v_add_u32_e32 v8, v8, v10
	v_mul_lo_u32 v12, v4, v8
	v_mul_hi_u32 v13, v4, v11
	v_mul_hi_u32 v14, v4, v8
	;; [unrolled: 1-line block ×3, first 2 shown]
	v_mul_lo_u32 v11, v7, v11
	v_mul_hi_u32 v9, v7, v8
	v_add_co_u32_e32 v12, vcc, v13, v12
	v_addc_co_u32_e32 v13, vcc, 0, v14, vcc
	v_mul_lo_u32 v8, v7, v8
	v_add_co_u32_e32 v11, vcc, v12, v11
	v_addc_co_u32_e32 v10, vcc, v13, v10, vcc
	v_addc_co_u32_e32 v9, vcc, 0, v9, vcc
	v_add_co_u32_e32 v8, vcc, v10, v8
	v_addc_co_u32_e32 v9, vcc, 0, v9, vcc
	v_add_co_u32_e32 v4, vcc, v4, v8
	v_addc_co_u32_e32 v9, vcc, v7, v9, vcc
	v_mad_u64_u32 v[7:8], s[0:1], v5, v9, 0
	v_mul_hi_u32 v10, v5, v4
	v_add_co_u32_e32 v11, vcc, v10, v7
	v_addc_co_u32_e32 v12, vcc, 0, v8, vcc
	v_mad_u64_u32 v[7:8], s[0:1], v6, v4, 0
	v_mad_u64_u32 v[9:10], s[0:1], v6, v9, 0
	v_add_co_u32_e32 v4, vcc, v11, v7
	v_addc_co_u32_e32 v4, vcc, v12, v8, vcc
	v_addc_co_u32_e32 v7, vcc, 0, v10, vcc
	v_add_co_u32_e32 v4, vcc, v4, v9
	v_addc_co_u32_e32 v9, vcc, 0, v7, vcc
	v_mul_lo_u32 v10, s21, v4
	v_mul_lo_u32 v11, s20, v9
	v_mad_u64_u32 v[7:8], s[0:1], s20, v4, 0
	v_add3_u32 v8, v8, v11, v10
	v_sub_u32_e32 v10, v6, v8
	v_mov_b32_e32 v11, s21
	v_sub_co_u32_e32 v7, vcc, v5, v7
	v_subb_co_u32_e64 v10, s[0:1], v10, v11, vcc
	v_subrev_co_u32_e64 v11, s[0:1], s20, v7
	v_subbrev_co_u32_e64 v10, s[0:1], 0, v10, s[0:1]
	v_cmp_le_u32_e64 s[0:1], s21, v10
	v_cndmask_b32_e64 v12, 0, -1, s[0:1]
	v_cmp_le_u32_e64 s[0:1], s20, v11
	v_cndmask_b32_e64 v11, 0, -1, s[0:1]
	v_cmp_eq_u32_e64 s[0:1], s21, v10
	v_cndmask_b32_e64 v10, v12, v11, s[0:1]
	v_add_co_u32_e64 v11, s[0:1], 2, v4
	v_addc_co_u32_e64 v12, s[0:1], 0, v9, s[0:1]
	v_add_co_u32_e64 v13, s[0:1], 1, v4
	v_addc_co_u32_e64 v14, s[0:1], 0, v9, s[0:1]
	v_subb_co_u32_e32 v8, vcc, v6, v8, vcc
	v_cmp_ne_u32_e64 s[0:1], 0, v10
	v_cmp_le_u32_e32 vcc, s21, v8
	v_cndmask_b32_e64 v10, v14, v12, s[0:1]
	v_cndmask_b32_e64 v12, 0, -1, vcc
	v_cmp_le_u32_e32 vcc, s20, v7
	v_cndmask_b32_e64 v7, 0, -1, vcc
	v_cmp_eq_u32_e32 vcc, s21, v8
	v_cndmask_b32_e32 v7, v12, v7, vcc
	v_cmp_ne_u32_e32 vcc, 0, v7
	v_cndmask_b32_e64 v7, v13, v11, s[0:1]
	v_cndmask_b32_e32 v8, v9, v10, vcc
	v_cndmask_b32_e32 v7, v4, v7, vcc
.LBB0_4:                                ;   in Loop: Header=BB0_2 Depth=1
	s_andn2_saveexec_b64 s[0:1], s[22:23]
	s_cbranch_execz .LBB0_6
; %bb.5:                                ;   in Loop: Header=BB0_2 Depth=1
	v_cvt_f32_u32_e32 v4, s20
	s_sub_i32 s22, 0, s20
	v_rcp_iflag_f32_e32 v4, v4
	v_mul_f32_e32 v4, 0x4f7ffffe, v4
	v_cvt_u32_f32_e32 v4, v4
	v_mul_lo_u32 v7, s22, v4
	v_mul_hi_u32 v7, v4, v7
	v_add_u32_e32 v4, v4, v7
	v_mul_hi_u32 v4, v5, v4
	v_mul_lo_u32 v7, v4, s20
	v_add_u32_e32 v8, 1, v4
	v_sub_u32_e32 v7, v5, v7
	v_subrev_u32_e32 v9, s20, v7
	v_cmp_le_u32_e32 vcc, s20, v7
	v_cndmask_b32_e32 v7, v7, v9, vcc
	v_cndmask_b32_e32 v4, v4, v8, vcc
	v_add_u32_e32 v8, 1, v4
	v_cmp_le_u32_e32 vcc, s20, v7
	v_cndmask_b32_e32 v7, v4, v8, vcc
	v_mov_b32_e32 v8, v3
.LBB0_6:                                ;   in Loop: Header=BB0_2 Depth=1
	s_or_b64 exec, exec, s[0:1]
	v_mul_lo_u32 v4, v8, s20
	v_mul_lo_u32 v11, v7, s21
	v_mad_u64_u32 v[9:10], s[0:1], v7, s20, 0
	s_load_dwordx2 s[0:1], s[6:7], 0x0
	s_add_u32 s16, s16, 1
	v_add3_u32 v4, v10, v11, v4
	v_sub_co_u32_e32 v5, vcc, v5, v9
	v_subb_co_u32_e32 v4, vcc, v6, v4, vcc
	s_waitcnt lgkmcnt(0)
	v_mul_lo_u32 v4, s0, v4
	v_mul_lo_u32 v6, s1, v5
	v_mad_u64_u32 v[1:2], s[0:1], s0, v5, v[1:2]
	s_addc_u32 s17, s17, 0
	s_add_u32 s6, s6, 8
	v_add3_u32 v2, v6, v2, v4
	v_mov_b32_e32 v4, s10
	v_mov_b32_e32 v5, s11
	s_addc_u32 s7, s7, 0
	v_cmp_ge_u64_e32 vcc, s[16:17], v[4:5]
	s_add_u32 s18, s18, 8
	s_addc_u32 s19, s19, 0
	s_cbranch_vccnz .LBB0_8
; %bb.7:                                ;   in Loop: Header=BB0_2 Depth=1
	v_mov_b32_e32 v5, v7
	v_mov_b32_e32 v6, v8
	s_branch .LBB0_2
.LBB0_8:
	s_lshl_b64 s[0:1], s[10:11], 3
	s_add_u32 s0, s14, s0
	s_addc_u32 s1, s15, s1
	s_load_dwordx2 s[6:7], s[0:1], 0x0
	s_load_dwordx2 s[10:11], s[4:5], 0x20
	s_waitcnt lgkmcnt(0)
	v_mad_u64_u32 v[1:2], s[0:1], s6, v7, v[1:2]
	s_mov_b32 s0, 0x7507508
	v_mul_lo_u32 v3, s6, v8
	v_mul_lo_u32 v4, s7, v7
	v_mul_hi_u32 v5, v0, s0
	v_cmp_gt_u64_e32 vcc, s[10:11], v[7:8]
	v_cmp_le_u64_e64 s[0:1], s[10:11], v[7:8]
	v_add3_u32 v2, v4, v2, v3
	v_mul_u32_u24_e32 v3, 35, v5
	v_sub_u32_e32 v43, v0, v3
	v_add_u32_e32 v44, 35, v43
                                        ; implicit-def: $sgpr6
	s_and_saveexec_b64 s[4:5], s[0:1]
	s_xor_b64 s[0:1], exec, s[4:5]
; %bb.9:
	v_add_u32_e32 v44, 35, v43
	s_mov_b32 s6, 0
; %bb.10:
	s_or_saveexec_b64 s[4:5], s[0:1]
	v_lshlrev_b64 v[40:41], 4, v[1:2]
	v_mov_b32_e32 v42, s6
                                        ; implicit-def: $vgpr26_vgpr27
                                        ; implicit-def: $vgpr18_vgpr19
                                        ; implicit-def: $vgpr10_vgpr11
                                        ; implicit-def: $vgpr6_vgpr7
                                        ; implicit-def: $vgpr14_vgpr15
                                        ; implicit-def: $vgpr22_vgpr23
                                        ; implicit-def: $vgpr2_vgpr3
	s_xor_b64 exec, exec, s[4:5]
	s_cbranch_execz .LBB0_12
; %bb.11:
	v_mad_u64_u32 v[0:1], s[0:1], s2, v43, 0
	v_mov_b32_e32 v4, s13
	v_add_u32_e32 v6, 0x46, v43
	v_mad_u64_u32 v[1:2], s[0:1], s3, v43, v[1:2]
	v_mad_u64_u32 v[2:3], s[0:1], s2, v44, 0
	v_add_co_u32_e64 v8, s[0:1], s12, v40
	v_addc_co_u32_e64 v9, s[0:1], v4, v41, s[0:1]
	v_mad_u64_u32 v[3:4], s[0:1], s3, v44, v[3:4]
	v_mad_u64_u32 v[4:5], s[0:1], s2, v6, 0
	v_lshlrev_b64 v[0:1], 4, v[0:1]
	v_mov_b32_e32 v42, v43
	v_add_co_u32_e64 v29, s[0:1], v8, v0
	v_addc_co_u32_e64 v30, s[0:1], v9, v1, s[0:1]
	v_lshlrev_b64 v[0:1], 4, v[2:3]
	v_mov_b32_e32 v2, v5
	v_mad_u64_u32 v[2:3], s[0:1], s3, v6, v[2:3]
	v_add_u32_e32 v3, 0x69, v43
	v_mad_u64_u32 v[6:7], s[0:1], s2, v3, 0
	v_add_co_u32_e64 v31, s[0:1], v8, v0
	v_mov_b32_e32 v5, v2
	v_mov_b32_e32 v2, v7
	v_addc_co_u32_e64 v32, s[0:1], v9, v1, s[0:1]
	v_lshlrev_b64 v[0:1], 4, v[4:5]
	v_mad_u64_u32 v[2:3], s[0:1], s3, v3, v[2:3]
	v_add_u32_e32 v5, 0x8c, v43
	v_mad_u64_u32 v[3:4], s[0:1], s2, v5, 0
	v_add_co_u32_e64 v33, s[0:1], v8, v0
	v_mov_b32_e32 v7, v2
	v_mov_b32_e32 v2, v4
	v_addc_co_u32_e64 v34, s[0:1], v9, v1, s[0:1]
	v_lshlrev_b64 v[0:1], 4, v[6:7]
	v_mad_u64_u32 v[4:5], s[0:1], s3, v5, v[2:3]
	v_add_u32_e32 v7, 0xaf, v43
	v_mad_u64_u32 v[5:6], s[0:1], s2, v7, 0
	v_add_co_u32_e64 v35, s[0:1], v8, v0
	v_mov_b32_e32 v2, v6
	v_addc_co_u32_e64 v36, s[0:1], v9, v1, s[0:1]
	v_lshlrev_b64 v[0:1], 4, v[3:4]
	v_mad_u64_u32 v[2:3], s[0:1], s3, v7, v[2:3]
	v_add_u32_e32 v7, 0xd2, v43
	v_mad_u64_u32 v[3:4], s[0:1], s2, v7, 0
	v_add_co_u32_e64 v37, s[0:1], v8, v0
	v_mov_b32_e32 v6, v2
	v_mov_b32_e32 v2, v4
	v_addc_co_u32_e64 v38, s[0:1], v9, v1, s[0:1]
	v_lshlrev_b64 v[0:1], 4, v[5:6]
	v_mad_u64_u32 v[4:5], s[0:1], s3, v7, v[2:3]
	v_add_co_u32_e64 v45, s[0:1], v8, v0
	v_addc_co_u32_e64 v46, s[0:1], v9, v1, s[0:1]
	v_lshlrev_b64 v[0:1], 4, v[3:4]
	v_add_co_u32_e64 v47, s[0:1], v8, v0
	v_addc_co_u32_e64 v48, s[0:1], v9, v1, s[0:1]
	global_load_dwordx4 v[0:3], v[29:30], off
	global_load_dwordx4 v[20:23], v[31:32], off
	;; [unrolled: 1-line block ×7, first 2 shown]
.LBB0_12:
	s_or_b64 exec, exec, s[4:5]
	s_waitcnt vmcnt(0)
	v_add_f64 v[31:32], v[26:27], v[22:23]
	v_add_f64 v[35:36], v[18:19], v[14:15]
	;; [unrolled: 1-line block ×5, first 2 shown]
	v_add_f64 v[20:21], v[20:21], -v[24:25]
	v_add_f64 v[24:25], v[8:9], v[4:5]
	v_add_f64 v[22:23], v[22:23], -v[26:27]
	v_add_f64 v[14:15], v[14:15], -v[18:19]
	v_add_f64 v[47:48], v[35:36], v[31:32]
	v_add_f64 v[6:7], v[10:11], -v[6:7]
	v_add_f64 v[45:46], v[33:34], v[29:30]
	v_add_f64 v[12:13], v[12:13], -v[16:17]
	v_add_f64 v[4:5], v[8:9], -v[4:5]
	v_add_f64 v[16:17], v[33:34], -v[29:30]
	v_add_f64 v[33:34], v[24:25], -v[33:34]
	s_mov_b32 s0, 0x36b3c0b5
	v_add_f64 v[26:27], v[37:38], v[47:48]
	s_mov_b32 s10, 0xe976ee23
	v_add_f64 v[18:19], v[24:25], v[45:46]
	v_add_f64 v[45:46], v[35:36], -v[31:32]
	v_add_f64 v[35:36], v[37:38], -v[35:36]
	;; [unrolled: 1-line block ×3, first 2 shown]
	s_mov_b32 s1, 0x3fac98ee
	s_mov_b32 s11, 0x3fe11646
	v_add_f64 v[10:11], v[2:3], v[26:27]
	v_add_f64 v[2:3], v[6:7], -v[14:15]
	v_add_f64 v[8:9], v[0:1], v[18:19]
	v_add_f64 v[47:48], v[6:7], v[14:15]
	;; [unrolled: 1-line block ×3, first 2 shown]
	v_add_f64 v[0:1], v[12:13], -v[20:21]
	v_add_f64 v[12:13], v[14:15], -v[22:23]
	v_mul_f64 v[14:15], v[33:34], s[0:1]
	v_add_f64 v[24:25], v[29:30], -v[24:25]
	v_mul_f64 v[2:3], v[2:3], s[10:11]
	s_mov_b32 s4, 0xaaaaaaaa
	s_mov_b32 s5, 0xbff2aaaa
	;; [unrolled: 1-line block ×4, first 2 shown]
	v_fma_f64 v[53:54], v[18:19], s[4:5], v[8:9]
	s_mov_b32 s7, 0x3fe77f67
	s_mov_b32 s6, 0x5476071b
	v_mul_f64 v[18:19], v[35:36], s[0:1]
	s_mov_b32 s15, 0xbfebfeb5
	v_mul_f64 v[51:52], v[51:52], s[10:11]
	v_add_f64 v[4:5], v[20:21], -v[4:5]
	v_add_f64 v[6:7], v[22:23], -v[6:7]
	s_mov_b32 s17, 0x3fe948f6
	v_add_f64 v[47:48], v[47:48], v[22:23]
	v_fma_f64 v[14:15], v[16:17], s[6:7], -v[14:15]
	v_fma_f64 v[55:56], v[12:13], s[14:15], -v[2:3]
	v_add_f64 v[49:50], v[49:50], v[20:21]
	v_add_f64 v[20:21], v[31:32], -v[37:38]
	v_mul_f64 v[22:23], v[24:25], s[16:17]
	v_mul_f64 v[12:13], v[12:13], s[14:15]
	s_mov_b32 s11, 0xbfd5d0dc
	s_mov_b32 s10, 0xb247c609
	v_fma_f64 v[18:19], v[45:46], s[6:7], -v[18:19]
	v_fma_f64 v[24:25], v[4:5], s[10:11], v[51:52]
	v_fma_f64 v[2:3], v[6:7], s[10:11], v[2:3]
	s_mov_b32 s11, 0x3fd5d0dc
	s_mov_b32 s7, 0xbfe77f67
	v_add_f64 v[57:58], v[14:15], v[53:54]
	v_fma_f64 v[14:15], v[0:1], s[14:15], -v[51:52]
	v_mul_f64 v[0:1], v[0:1], s[14:15]
	v_mul_f64 v[20:21], v[20:21], s[16:17]
	v_fma_f64 v[16:17], v[16:17], s[6:7], -v[22:23]
	v_fma_f64 v[6:7], v[6:7], s[10:11], -v[12:13]
	v_fma_f64 v[26:27], v[26:27], s[4:5], v[10:11]
	s_mov_b32 s4, 0x37c3f68c
	s_mov_b32 s5, 0xbfdc38aa
	v_fma_f64 v[22:23], v[33:34], s[0:1], v[22:23]
	v_fma_f64 v[0:1], v[4:5], s[10:11], -v[0:1]
	v_fma_f64 v[29:30], v[45:46], s[6:7], -v[20:21]
	v_add_f64 v[31:32], v[16:17], v[53:54]
	v_fma_f64 v[6:7], v[47:48], s[4:5], v[6:7]
	v_fma_f64 v[35:36], v[35:36], s[0:1], v[20:21]
	v_add_f64 v[18:19], v[18:19], v[26:27]
	v_fma_f64 v[4:5], v[49:50], s[4:5], v[14:15]
	s_mov_b32 s0, 0x24924925
	v_fma_f64 v[33:34], v[49:50], s[4:5], v[0:1]
	v_add_f64 v[29:30], v[29:30], v[26:27]
	v_fma_f64 v[37:38], v[47:48], s[4:5], v[2:3]
	v_add_f64 v[20:21], v[6:7], v[31:32]
	v_add_f64 v[0:1], v[31:32], -v[6:7]
	v_add_f64 v[6:7], v[35:36], v[26:27]
	v_mul_hi_u32 v26, v28, s0
	v_add_f64 v[14:15], v[4:5], v[18:19]
	v_add_f64 v[18:19], v[18:19], -v[4:5]
	v_add_f64 v[4:5], v[22:23], v[53:54]
	v_fma_f64 v[31:32], v[49:50], s[4:5], v[24:25]
	v_fma_f64 v[55:56], v[47:48], s[4:5], v[55:56]
	v_sub_u32_e32 v27, v28, v26
	v_lshrrev_b32_e32 v27, 1, v27
	v_add_u32_e32 v26, v27, v26
	v_lshrrev_b32_e32 v26, 2, v26
	v_add_f64 v[22:23], v[29:30], -v[33:34]
	v_add_f64 v[2:3], v[33:34], v[29:30]
	v_mul_lo_u32 v29, v26, 7
	v_add_f64 v[24:25], v[37:38], v[4:5]
	v_add_f64 v[26:27], v[6:7], -v[31:32]
	v_add_f64 v[12:13], v[57:58], -v[55:56]
	v_add_f64 v[16:17], v[55:56], v[57:58]
	v_sub_u32_e32 v28, v28, v29
	v_mul_u32_u24_e32 v48, 0xf5, v28
	v_add_f64 v[4:5], v[4:5], -v[37:38]
	v_add_f64 v[6:7], v[31:32], v[6:7]
	v_lshl_add_u32 v28, v48, 4, 0
	s_movk_i32 s0, 0x70
	v_mad_u32_u24 v29, v43, s0, v28
	v_lshl_add_u32 v45, v43, 4, v28
	s_movk_i32 s0, 0xffa0
	ds_write_b128 v29, v[8:11]
	ds_write_b128 v29, v[24:27] offset:16
	ds_write_b128 v29, v[20:23] offset:32
	;; [unrolled: 1-line block ×6, first 2 shown]
	s_waitcnt lgkmcnt(0)
	s_barrier
	v_mad_i32_i24 v46, v43, s0, v29
	ds_read_b128 v[20:23], v45
	ds_read_b128 v[36:39], v46 offset:784
	ds_read_b128 v[28:31], v46 offset:1568
	;; [unrolled: 1-line block ×4, first 2 shown]
	v_cmp_gt_u32_e64 s[0:1], 14, v43
	v_lshlrev_b32_e32 v47, 4, v44
	v_lshlrev_b32_e32 v48, 4, v48
                                        ; implicit-def: $vgpr18_vgpr19
                                        ; implicit-def: $vgpr14_vgpr15
                                        ; implicit-def: $vgpr10_vgpr11
	s_and_saveexec_b64 s[4:5], s[0:1]
	s_cbranch_execz .LBB0_14
; %bb.13:
	v_add3_u32 v0, 0, v47, v48
	ds_read_b128 v[0:3], v0
	ds_read_b128 v[4:7], v46 offset:1344
	ds_read_b128 v[8:11], v46 offset:2128
	;; [unrolled: 1-line block ×4, first 2 shown]
.LBB0_14:
	s_or_b64 exec, exec, s[4:5]
	v_mov_b32_e32 v49, 37
	v_mul_lo_u16_sdwa v50, v43, v49 dst_sel:DWORD dst_unused:UNUSED_PAD src0_sel:BYTE_0 src1_sel:DWORD
	v_sub_u16_sdwa v51, v43, v50 dst_sel:DWORD dst_unused:UNUSED_PAD src0_sel:DWORD src1_sel:BYTE_1
	v_lshrrev_b16_e32 v51, 1, v51
	v_and_b32_e32 v51, 0x7f, v51
	v_add_u16_sdwa v50, v51, v50 dst_sel:DWORD dst_unused:UNUSED_PAD src0_sel:DWORD src1_sel:BYTE_1
	v_lshrrev_b16_e32 v74, 2, v50
	v_mul_lo_u16_e32 v50, 7, v74
	v_sub_u16_e32 v75, v43, v50
	v_mov_b32_e32 v50, 6
	v_lshlrev_b32_sdwa v51, v50, v75 dst_sel:DWORD dst_unused:UNUSED_PAD src0_sel:DWORD src1_sel:BYTE_0
	global_load_dwordx4 v[52:55], v51, s[8:9]
	global_load_dwordx4 v[56:59], v51, s[8:9] offset:16
	global_load_dwordx4 v[60:63], v51, s[8:9] offset:32
	;; [unrolled: 1-line block ×3, first 2 shown]
	s_movk_i32 s20, 0x230
	v_mov_b32_e32 v51, 4
	v_mad_u32_u24 v78, v74, s20, 0
	v_lshlrev_b32_sdwa v79, v51, v75 dst_sel:DWORD dst_unused:UNUSED_PAD src0_sel:DWORD src1_sel:BYTE_0
	s_mov_b32 s4, 0x134454ff
	s_mov_b32 s5, 0xbfee6f0e
	;; [unrolled: 1-line block ×10, first 2 shown]
	s_waitcnt vmcnt(0) lgkmcnt(0)
	s_barrier
	v_mul_f64 v[68:69], v[38:39], v[54:55]
	v_mul_f64 v[54:55], v[36:37], v[54:55]
	;; [unrolled: 1-line block ×5, first 2 shown]
	v_fma_f64 v[36:37], v[36:37], v[52:53], v[68:69]
	v_fma_f64 v[38:39], v[38:39], v[52:53], -v[54:55]
	v_mul_f64 v[54:55], v[24:25], v[62:63]
	v_mul_f64 v[62:63], v[34:35], v[66:67]
	;; [unrolled: 1-line block ×3, first 2 shown]
	v_fma_f64 v[28:29], v[28:29], v[56:57], v[70:71]
	v_fma_f64 v[24:25], v[24:25], v[60:61], v[72:73]
	v_fma_f64 v[30:31], v[30:31], v[56:57], -v[58:59]
	v_add_f64 v[70:71], v[22:23], v[38:39]
	v_fma_f64 v[26:27], v[26:27], v[60:61], -v[54:55]
	v_fma_f64 v[32:33], v[32:33], v[64:65], v[62:63]
	v_fma_f64 v[34:35], v[34:35], v[64:65], -v[52:53]
	v_add_f64 v[60:61], v[36:37], -v[28:29]
	v_add_f64 v[52:53], v[20:21], v[36:37]
	v_add_f64 v[54:55], v[28:29], v[24:25]
	v_add_f64 v[66:67], v[28:29], -v[36:37]
	v_add_f64 v[74:75], v[38:39], -v[30:31]
	v_add_f64 v[72:73], v[30:31], v[26:27]
	v_add_f64 v[62:63], v[32:33], -v[24:25]
	v_add_f64 v[64:65], v[36:37], v[32:33]
	v_add_f64 v[68:69], v[24:25], -v[32:33]
	v_add_f64 v[56:57], v[38:39], -v[34:35]
	;; [unrolled: 1-line block ×4, first 2 shown]
	v_add_f64 v[52:53], v[52:53], v[28:29]
	v_fma_f64 v[54:55], v[54:55], -0.5, v[20:21]
	v_add_f64 v[60:61], v[60:61], v[62:63]
	v_add_f64 v[62:63], v[38:39], v[34:35]
	v_add_f64 v[38:39], v[30:31], -v[38:39]
	v_fma_f64 v[20:21], v[64:65], -0.5, v[20:21]
	v_add_f64 v[30:31], v[70:71], v[30:31]
	v_fma_f64 v[64:65], v[72:73], -0.5, v[22:23]
	v_add_f64 v[28:29], v[28:29], -v[24:25]
	v_add_f64 v[76:77], v[34:35], -v[26:27]
	v_add_f64 v[66:67], v[66:67], v[68:69]
	v_fma_f64 v[22:23], v[62:63], -0.5, v[22:23]
	v_add_f64 v[68:69], v[26:27], -v[34:35]
	v_add_f64 v[24:25], v[52:53], v[24:25]
	v_fma_f64 v[52:53], v[56:57], s[4:5], v[54:55]
	v_add_f64 v[26:27], v[30:31], v[26:27]
	v_fma_f64 v[30:31], v[36:37], s[16:17], v[64:65]
	v_fma_f64 v[54:55], v[56:57], s[16:17], v[54:55]
	;; [unrolled: 1-line block ×4, first 2 shown]
	v_add_f64 v[70:71], v[74:75], v[76:77]
	v_add_f64 v[38:39], v[38:39], v[68:69]
	v_fma_f64 v[68:69], v[58:59], s[4:5], v[20:21]
	v_fma_f64 v[74:75], v[28:29], s[16:17], v[22:23]
	;; [unrolled: 1-line block ×3, first 2 shown]
	v_add_f64 v[20:21], v[24:25], v[32:33]
	v_fma_f64 v[24:25], v[58:59], s[6:7], v[52:53]
	v_add_f64 v[22:23], v[26:27], v[34:35]
	v_fma_f64 v[26:27], v[28:29], s[14:15], v[30:31]
	v_fma_f64 v[32:33], v[58:59], s[14:15], v[54:55]
	;; [unrolled: 1-line block ×15, first 2 shown]
	v_add3_u32 v52, v78, v79, v48
	ds_write_b128 v52, v[20:23]
	ds_write_b128 v52, v[24:27] offset:112
	ds_write_b128 v52, v[32:35] offset:224
	;; [unrolled: 1-line block ×4, first 2 shown]
	s_and_saveexec_b64 s[18:19], s[0:1]
	s_cbranch_execz .LBB0_16
; %bb.15:
	v_mul_lo_u16_sdwa v20, v44, v49 dst_sel:DWORD dst_unused:UNUSED_PAD src0_sel:BYTE_0 src1_sel:DWORD
	v_sub_u16_sdwa v21, v44, v20 dst_sel:DWORD dst_unused:UNUSED_PAD src0_sel:DWORD src1_sel:BYTE_1
	v_lshrrev_b16_e32 v21, 1, v21
	v_and_b32_e32 v21, 0x7f, v21
	v_add_u16_sdwa v20, v21, v20 dst_sel:DWORD dst_unused:UNUSED_PAD src0_sel:DWORD src1_sel:BYTE_1
	v_lshrrev_b16_e32 v62, 2, v20
	v_mul_lo_u16_e32 v20, 7, v62
	v_sub_u16_e32 v44, v44, v20
	v_lshlrev_b32_sdwa v36, v50, v44 dst_sel:DWORD dst_unused:UNUSED_PAD src0_sel:DWORD src1_sel:BYTE_0
	global_load_dwordx4 v[20:23], v36, s[8:9] offset:16
	global_load_dwordx4 v[24:27], v36, s[8:9]
	global_load_dwordx4 v[28:31], v36, s[8:9] offset:32
	global_load_dwordx4 v[32:35], v36, s[8:9] offset:48
	s_waitcnt vmcnt(3)
	v_mul_f64 v[36:37], v[8:9], v[22:23]
	s_waitcnt vmcnt(2)
	v_mul_f64 v[38:39], v[4:5], v[26:27]
	;; [unrolled: 2-line block ×4, first 2 shown]
	v_mul_f64 v[22:23], v[10:11], v[22:23]
	v_mul_f64 v[30:31], v[14:15], v[30:31]
	;; [unrolled: 1-line block ×4, first 2 shown]
	v_fma_f64 v[10:11], v[10:11], v[20:21], -v[36:37]
	v_fma_f64 v[6:7], v[6:7], v[24:25], -v[38:39]
	;; [unrolled: 1-line block ×4, first 2 shown]
	v_fma_f64 v[8:9], v[8:9], v[20:21], v[22:23]
	v_fma_f64 v[12:13], v[12:13], v[28:29], v[30:31]
	;; [unrolled: 1-line block ×4, first 2 shown]
	v_add_f64 v[20:21], v[10:11], -v[6:7]
	v_add_f64 v[30:31], v[6:7], -v[10:11]
	v_add_f64 v[22:23], v[14:15], -v[18:19]
	v_add_f64 v[26:27], v[6:7], v[18:19]
	v_add_f64 v[32:33], v[18:19], -v[14:15]
	v_add_f64 v[34:35], v[10:11], v[14:15]
	v_add_f64 v[52:53], v[4:5], v[16:17]
	;; [unrolled: 1-line block ×4, first 2 shown]
	v_add_f64 v[28:29], v[4:5], -v[16:17]
	v_add_f64 v[38:39], v[8:9], -v[4:5]
	;; [unrolled: 1-line block ×3, first 2 shown]
	v_add_f64 v[4:5], v[0:1], v[4:5]
	v_add_f64 v[24:25], v[8:9], -v[12:13]
	v_add_f64 v[49:50], v[12:13], -v[16:17]
	;; [unrolled: 1-line block ×3, first 2 shown]
	v_add_f64 v[20:21], v[20:21], v[22:23]
	v_fma_f64 v[22:23], v[26:27], -0.5, v[2:3]
	v_add_f64 v[26:27], v[30:31], v[32:33]
	v_fma_f64 v[2:3], v[34:35], -0.5, v[2:3]
	v_fma_f64 v[32:33], v[52:53], -0.5, v[0:1]
	;; [unrolled: 1-line block ×3, first 2 shown]
	v_add_f64 v[54:55], v[10:11], -v[14:15]
	v_add_f64 v[10:11], v[36:37], v[10:11]
	v_add_f64 v[4:5], v[4:5], v[8:9]
	v_add_f64 v[58:59], v[16:17], -v[12:13]
	v_add_f64 v[30:31], v[38:39], v[49:50]
	v_fma_f64 v[8:9], v[24:25], s[16:17], v[22:23]
	v_fma_f64 v[22:23], v[24:25], s[4:5], v[22:23]
	;; [unrolled: 1-line block ×6, first 2 shown]
	v_add_f64 v[10:11], v[10:11], v[14:15]
	v_fma_f64 v[14:15], v[54:55], s[4:5], v[32:33]
	v_fma_f64 v[32:33], v[54:55], s[16:17], v[32:33]
	v_add_f64 v[4:5], v[4:5], v[12:13]
	v_add_f64 v[34:35], v[56:57], v[58:59]
	v_fma_f64 v[12:13], v[28:29], s[14:15], v[22:23]
	v_fma_f64 v[22:23], v[24:25], s[6:7], v[36:37]
	;; [unrolled: 1-line block ×8, first 2 shown]
	v_add_f64 v[2:3], v[10:11], v[18:19]
	v_add_f64 v[0:1], v[4:5], v[16:17]
	v_fma_f64 v[18:19], v[26:27], s[10:11], v[24:25]
	v_fma_f64 v[16:17], v[34:35], s[10:11], v[36:37]
	;; [unrolled: 1-line block ×8, first 2 shown]
	v_mad_u32_u24 v20, v62, s20, 0
	v_lshlrev_b32_sdwa v21, v51, v44 dst_sel:DWORD dst_unused:UNUSED_PAD src0_sel:DWORD src1_sel:BYTE_0
	v_add3_u32 v20, v20, v21, v48
	ds_write_b128 v20, v[0:3]
	ds_write_b128 v20, v[16:19] offset:112
	ds_write_b128 v20, v[8:11] offset:224
	;; [unrolled: 1-line block ×4, first 2 shown]
.LBB0_16:
	s_or_b64 exec, exec, s[18:19]
	s_waitcnt lgkmcnt(0)
	s_barrier
	s_and_saveexec_b64 s[0:1], vcc
	s_cbranch_execz .LBB0_18
; %bb.17:
	v_mul_u32_u24_e32 v0, 6, v43
	v_lshlrev_b32_e32 v24, 4, v0
	global_load_dwordx4 v[0:3], v24, s[8:9] offset:496
	global_load_dwordx4 v[4:7], v24, s[8:9] offset:480
	;; [unrolled: 1-line block ×6, first 2 shown]
	ds_read_b128 v[24:27], v46 offset:2240
	ds_read_b128 v[28:31], v46 offset:1680
	v_add3_u32 v54, 0, v47, v48
	ds_read_b128 v[32:35], v46 offset:2800
	ds_read_b128 v[36:39], v46 offset:3360
	;; [unrolled: 1-line block ×3, first 2 shown]
	ds_read_b128 v[50:53], v45
	ds_read_b128 v[54:57], v54
	v_mad_u64_u32 v[43:44], s[18:19], s2, v42, 0
	s_mov_b32 s6, 0xe976ee23
	s_mov_b32 s14, 0x37e14327
	;; [unrolled: 1-line block ×16, first 2 shown]
	s_waitcnt vmcnt(5) lgkmcnt(6)
	v_mul_f64 v[58:59], v[2:3], v[26:27]
	s_waitcnt vmcnt(4) lgkmcnt(5)
	v_mul_f64 v[60:61], v[6:7], v[30:31]
	v_mul_f64 v[6:7], v[28:29], v[6:7]
	s_waitcnt vmcnt(3) lgkmcnt(2)
	v_mul_f64 v[62:63], v[10:11], v[48:49]
	s_waitcnt vmcnt(2)
	v_mul_f64 v[64:65], v[14:15], v[34:35]
	s_waitcnt vmcnt(1) lgkmcnt(0)
	v_mul_f64 v[66:67], v[18:19], v[56:57]
	s_waitcnt vmcnt(0)
	v_mul_f64 v[68:69], v[22:23], v[38:39]
	v_mul_f64 v[2:3], v[24:25], v[2:3]
	;; [unrolled: 1-line block ×4, first 2 shown]
	v_fma_f64 v[28:29], v[4:5], v[28:29], v[60:61]
	v_fma_f64 v[4:5], v[4:5], v[30:31], -v[6:7]
	v_mul_f64 v[6:7], v[54:55], v[18:19]
	v_mul_f64 v[18:19], v[36:37], v[22:23]
	v_fma_f64 v[22:23], v[0:1], v[24:25], v[58:59]
	v_fma_f64 v[24:25], v[8:9], v[46:47], v[62:63]
	;; [unrolled: 1-line block ×5, first 2 shown]
	v_fma_f64 v[0:1], v[0:1], v[26:27], -v[2:3]
	v_fma_f64 v[2:3], v[8:9], v[48:49], -v[10:11]
	v_fma_f64 v[8:9], v[12:13], v[34:35], -v[14:15]
	v_fma_f64 v[6:7], v[16:17], v[56:57], -v[6:7]
	v_fma_f64 v[10:11], v[20:21], v[38:39], -v[18:19]
	v_mad_u64_u32 v[12:13], s[20:21], s3, v42, v[44:45]
	v_add_f64 v[13:14], v[22:23], -v[28:29]
	v_add_f64 v[15:16], v[24:25], -v[30:31]
	v_add_f64 v[21:22], v[22:23], v[28:29]
	v_add_f64 v[26:27], v[2:3], v[8:9]
	;; [unrolled: 1-line block ×6, first 2 shown]
	v_add_f64 v[0:1], v[0:1], -v[4:5]
	v_add_f64 v[2:3], v[2:3], -v[8:9]
	;; [unrolled: 1-line block ×5, first 2 shown]
	v_add_f64 v[32:33], v[26:27], v[34:35]
	v_add_f64 v[44:45], v[23:24], v[28:29]
	v_add_f64 v[30:31], v[34:35], -v[19:20]
	v_add_f64 v[38:39], v[28:29], -v[21:22]
	v_add_f64 v[48:49], v[0:1], -v[2:3]
	v_add_f64 v[6:7], v[13:14], v[15:16]
	v_add_f64 v[10:11], v[17:18], -v[13:14]
	v_add_f64 v[13:14], v[19:20], -v[26:27]
	v_add_f64 v[36:37], v[21:22], -v[23:24]
	;; [unrolled: 4-line block ×3, first 2 shown]
	v_add_f64 v[19:20], v[19:20], v[32:33]
	v_add_f64 v[21:22], v[21:22], v[44:45]
	v_add_f64 v[15:16], v[15:16], -v[17:18]
	v_add_f64 v[54:55], v[4:5], -v[0:1]
	v_mul_f64 v[8:9], v[8:9], s[6:7]
	v_mul_f64 v[29:30], v[30:31], s[14:15]
	;; [unrolled: 1-line block ×4, first 2 shown]
	v_add_f64 v[6:7], v[6:7], v[17:18]
	v_mul_f64 v[17:18], v[13:14], s[8:9]
	v_mul_f64 v[31:32], v[36:37], s[8:9]
	v_add_f64 v[4:5], v[46:47], v[4:5]
	v_mul_f64 v[46:47], v[27:28], s[16:17]
	v_add_f64 v[2:3], v[52:53], v[19:20]
	v_add_f64 v[0:1], v[50:51], v[21:22]
	v_mul_f64 v[44:45], v[15:16], s[16:17]
	v_fma_f64 v[48:49], v[10:11], s[4:5], v[8:9]
	v_fma_f64 v[13:14], v[13:14], s[8:9], v[29:30]
	;; [unrolled: 1-line block ×4, first 2 shown]
	s_mov_b32 s5, 0x3fd5d0dc
	v_fma_f64 v[29:30], v[25:26], s[18:19], -v[29:30]
	v_fma_f64 v[33:34], v[23:24], s[18:19], -v[33:34]
	s_mov_b32 s19, 0x3fe77f67
	v_fma_f64 v[8:9], v[15:16], s[16:17], -v[8:9]
	v_fma_f64 v[15:16], v[27:28], s[16:17], -v[38:39]
	v_fma_f64 v[27:28], v[54:55], s[4:5], -v[46:47]
	v_fma_f64 v[17:18], v[25:26], s[18:19], -v[17:18]
	v_fma_f64 v[23:24], v[23:24], s[18:19], -v[31:32]
	v_fma_f64 v[19:20], v[19:20], s[10:11], v[2:3]
	v_fma_f64 v[21:22], v[21:22], s[10:11], v[0:1]
	v_fma_f64 v[10:11], v[10:11], s[4:5], -v[44:45]
	v_fma_f64 v[25:26], v[6:7], s[0:1], v[48:49]
	v_fma_f64 v[31:32], v[4:5], s[0:1], v[50:51]
	;; [unrolled: 1-line block ×5, first 2 shown]
	v_add_f64 v[49:50], v[13:14], v[19:20]
	v_add_f64 v[35:36], v[35:36], v[21:22]
	;; [unrolled: 1-line block ×6, first 2 shown]
	v_fma_f64 v[47:48], v[6:7], s[0:1], v[10:11]
	v_mov_b32_e32 v44, v12
	v_add_f64 v[6:7], v[25:26], v[49:50]
	v_add_f64 v[4:5], v[35:36], -v[31:32]
	v_mov_b32_e32 v39, s13
	v_add_f64 v[8:9], v[33:34], -v[27:28]
	v_add_f64 v[14:15], v[16:17], -v[37:38]
	v_add_f64 v[12:13], v[45:46], v[20:21]
	v_add_f64 v[18:19], v[37:38], v[16:17]
	v_add_f64 v[16:17], v[20:21], -v[45:46]
	v_add_f64 v[20:21], v[27:28], v[33:34]
	v_add_f64 v[26:27], v[49:50], -v[25:26]
	v_add_f64 v[24:25], v[31:32], v[35:36]
	v_add_u32_e32 v32, 35, v42
	v_add_f64 v[10:11], v[47:48], v[29:30]
	v_add_f64 v[22:23], v[29:30], -v[47:48]
	v_mad_u64_u32 v[30:31], s[0:1], s2, v32, 0
	v_add_u32_e32 v36, 0x46, v42
	v_add_co_u32_e32 v34, vcc, s12, v40
	v_mad_u64_u32 v[31:32], s[0:1], s3, v32, v[31:32]
	v_lshlrev_b64 v[28:29], 4, v[43:44]
	v_mad_u64_u32 v[32:33], s[0:1], s2, v36, 0
	v_addc_co_u32_e32 v35, vcc, v39, v41, vcc
	v_add_co_u32_e32 v28, vcc, v34, v28
	v_addc_co_u32_e32 v29, vcc, v35, v29, vcc
	global_store_dwordx4 v[28:29], v[0:3], off
	s_nop 0
	v_lshlrev_b64 v[0:1], 4, v[30:31]
	v_mov_b32_e32 v2, v33
	v_mad_u64_u32 v[2:3], s[0:1], s3, v36, v[2:3]
	v_add_co_u32_e32 v0, vcc, v34, v0
	v_addc_co_u32_e32 v1, vcc, v35, v1, vcc
	global_store_dwordx4 v[0:1], v[24:27], off
	v_mov_b32_e32 v33, v2
	v_add_u32_e32 v24, 0x69, v42
	v_mad_u64_u32 v[2:3], s[0:1], s2, v24, 0
	v_add_u32_e32 v27, 0x8c, v42
	v_lshlrev_b64 v[0:1], 4, v[32:33]
	v_mad_u64_u32 v[24:25], s[0:1], s3, v24, v[3:4]
	v_mad_u64_u32 v[25:26], s[0:1], s2, v27, 0
	v_add_co_u32_e32 v0, vcc, v34, v0
	v_addc_co_u32_e32 v1, vcc, v35, v1, vcc
	v_mov_b32_e32 v3, v24
	global_store_dwordx4 v[0:1], v[20:23], off
	v_lshlrev_b64 v[0:1], 4, v[2:3]
	v_mov_b32_e32 v2, v26
	v_mad_u64_u32 v[2:3], s[0:1], s3, v27, v[2:3]
	v_add_co_u32_e32 v0, vcc, v34, v0
	v_addc_co_u32_e32 v1, vcc, v35, v1, vcc
	global_store_dwordx4 v[0:1], v[16:19], off
	v_mov_b32_e32 v26, v2
	v_add_u32_e32 v16, 0xaf, v42
	v_mad_u64_u32 v[2:3], s[0:1], s2, v16, 0
	v_add_u32_e32 v19, 0xd2, v42
	v_lshlrev_b64 v[0:1], 4, v[25:26]
	v_mad_u64_u32 v[16:17], s[0:1], s3, v16, v[3:4]
	v_mad_u64_u32 v[17:18], s[0:1], s2, v19, 0
	v_add_co_u32_e32 v0, vcc, v34, v0
	v_addc_co_u32_e32 v1, vcc, v35, v1, vcc
	v_mov_b32_e32 v3, v16
	global_store_dwordx4 v[0:1], v[12:15], off
	v_lshlrev_b64 v[0:1], 4, v[2:3]
	v_mov_b32_e32 v2, v18
	v_mad_u64_u32 v[2:3], s[0:1], s3, v19, v[2:3]
	v_add_co_u32_e32 v0, vcc, v34, v0
	v_addc_co_u32_e32 v1, vcc, v35, v1, vcc
	v_mov_b32_e32 v18, v2
	global_store_dwordx4 v[0:1], v[8:11], off
	v_lshlrev_b64 v[0:1], 4, v[17:18]
	v_add_co_u32_e32 v0, vcc, v34, v0
	v_addc_co_u32_e32 v1, vcc, v35, v1, vcc
	global_store_dwordx4 v[0:1], v[4:7], off
.LBB0_18:
	s_endpgm
	.section	.rodata,"a",@progbits
	.p2align	6, 0x0
	.amdhsa_kernel fft_rtc_back_len245_factors_7_5_7_wgs_245_tpt_35_dp_ip_CI_sbrr_dirReg
		.amdhsa_group_segment_fixed_size 0
		.amdhsa_private_segment_fixed_size 0
		.amdhsa_kernarg_size 88
		.amdhsa_user_sgpr_count 6
		.amdhsa_user_sgpr_private_segment_buffer 1
		.amdhsa_user_sgpr_dispatch_ptr 0
		.amdhsa_user_sgpr_queue_ptr 0
		.amdhsa_user_sgpr_kernarg_segment_ptr 1
		.amdhsa_user_sgpr_dispatch_id 0
		.amdhsa_user_sgpr_flat_scratch_init 0
		.amdhsa_user_sgpr_private_segment_size 0
		.amdhsa_uses_dynamic_stack 0
		.amdhsa_system_sgpr_private_segment_wavefront_offset 0
		.amdhsa_system_sgpr_workgroup_id_x 1
		.amdhsa_system_sgpr_workgroup_id_y 0
		.amdhsa_system_sgpr_workgroup_id_z 0
		.amdhsa_system_sgpr_workgroup_info 0
		.amdhsa_system_vgpr_workitem_id 0
		.amdhsa_next_free_vgpr 80
		.amdhsa_next_free_sgpr 24
		.amdhsa_reserve_vcc 1
		.amdhsa_reserve_flat_scratch 0
		.amdhsa_float_round_mode_32 0
		.amdhsa_float_round_mode_16_64 0
		.amdhsa_float_denorm_mode_32 3
		.amdhsa_float_denorm_mode_16_64 3
		.amdhsa_dx10_clamp 1
		.amdhsa_ieee_mode 1
		.amdhsa_fp16_overflow 0
		.amdhsa_exception_fp_ieee_invalid_op 0
		.amdhsa_exception_fp_denorm_src 0
		.amdhsa_exception_fp_ieee_div_zero 0
		.amdhsa_exception_fp_ieee_overflow 0
		.amdhsa_exception_fp_ieee_underflow 0
		.amdhsa_exception_fp_ieee_inexact 0
		.amdhsa_exception_int_div_zero 0
	.end_amdhsa_kernel
	.text
.Lfunc_end0:
	.size	fft_rtc_back_len245_factors_7_5_7_wgs_245_tpt_35_dp_ip_CI_sbrr_dirReg, .Lfunc_end0-fft_rtc_back_len245_factors_7_5_7_wgs_245_tpt_35_dp_ip_CI_sbrr_dirReg
                                        ; -- End function
	.section	.AMDGPU.csdata,"",@progbits
; Kernel info:
; codeLenInByte = 5768
; NumSgprs: 28
; NumVgprs: 80
; ScratchSize: 0
; MemoryBound: 1
; FloatMode: 240
; IeeeMode: 1
; LDSByteSize: 0 bytes/workgroup (compile time only)
; SGPRBlocks: 3
; VGPRBlocks: 19
; NumSGPRsForWavesPerEU: 28
; NumVGPRsForWavesPerEU: 80
; Occupancy: 3
; WaveLimiterHint : 1
; COMPUTE_PGM_RSRC2:SCRATCH_EN: 0
; COMPUTE_PGM_RSRC2:USER_SGPR: 6
; COMPUTE_PGM_RSRC2:TRAP_HANDLER: 0
; COMPUTE_PGM_RSRC2:TGID_X_EN: 1
; COMPUTE_PGM_RSRC2:TGID_Y_EN: 0
; COMPUTE_PGM_RSRC2:TGID_Z_EN: 0
; COMPUTE_PGM_RSRC2:TIDIG_COMP_CNT: 0
	.type	__hip_cuid_c4ff2d8208635395,@object ; @__hip_cuid_c4ff2d8208635395
	.section	.bss,"aw",@nobits
	.globl	__hip_cuid_c4ff2d8208635395
__hip_cuid_c4ff2d8208635395:
	.byte	0                               ; 0x0
	.size	__hip_cuid_c4ff2d8208635395, 1

	.ident	"AMD clang version 19.0.0git (https://github.com/RadeonOpenCompute/llvm-project roc-6.4.0 25133 c7fe45cf4b819c5991fe208aaa96edf142730f1d)"
	.section	".note.GNU-stack","",@progbits
	.addrsig
	.addrsig_sym __hip_cuid_c4ff2d8208635395
	.amdgpu_metadata
---
amdhsa.kernels:
  - .args:
      - .actual_access:  read_only
        .address_space:  global
        .offset:         0
        .size:           8
        .value_kind:     global_buffer
      - .offset:         8
        .size:           8
        .value_kind:     by_value
      - .actual_access:  read_only
        .address_space:  global
        .offset:         16
        .size:           8
        .value_kind:     global_buffer
      - .actual_access:  read_only
        .address_space:  global
        .offset:         24
        .size:           8
        .value_kind:     global_buffer
      - .offset:         32
        .size:           8
        .value_kind:     by_value
      - .actual_access:  read_only
        .address_space:  global
        .offset:         40
        .size:           8
        .value_kind:     global_buffer
      - .actual_access:  read_only
        .address_space:  global
        .offset:         48
        .size:           8
        .value_kind:     global_buffer
      - .offset:         56
        .size:           4
        .value_kind:     by_value
      - .actual_access:  read_only
        .address_space:  global
        .offset:         64
        .size:           8
        .value_kind:     global_buffer
      - .actual_access:  read_only
        .address_space:  global
        .offset:         72
        .size:           8
        .value_kind:     global_buffer
      - .address_space:  global
        .offset:         80
        .size:           8
        .value_kind:     global_buffer
    .group_segment_fixed_size: 0
    .kernarg_segment_align: 8
    .kernarg_segment_size: 88
    .language:       OpenCL C
    .language_version:
      - 2
      - 0
    .max_flat_workgroup_size: 245
    .name:           fft_rtc_back_len245_factors_7_5_7_wgs_245_tpt_35_dp_ip_CI_sbrr_dirReg
    .private_segment_fixed_size: 0
    .sgpr_count:     28
    .sgpr_spill_count: 0
    .symbol:         fft_rtc_back_len245_factors_7_5_7_wgs_245_tpt_35_dp_ip_CI_sbrr_dirReg.kd
    .uniform_work_group_size: 1
    .uses_dynamic_stack: false
    .vgpr_count:     80
    .vgpr_spill_count: 0
    .wavefront_size: 64
amdhsa.target:   amdgcn-amd-amdhsa--gfx906
amdhsa.version:
  - 1
  - 2
...

	.end_amdgpu_metadata
